;; amdgpu-corpus repo=zjin-lcf/HeCBench kind=compiled arch=gfx906 opt=O3
	.amdgcn_target "amdgcn-amd-amdhsa--gfx906"
	.amdhsa_code_object_version 6
	.text
	.protected	_Z6reducePKfPdmm        ; -- Begin function _Z6reducePKfPdmm
	.globl	_Z6reducePKfPdmm
	.p2align	8
	.type	_Z6reducePKfPdmm,@function
_Z6reducePKfPdmm:                       ; @_Z6reducePKfPdmm
; %bb.0:
	s_load_dwordx2 s[2:3], s[4:5], 0x2c
	s_load_dwordx8 s[8:15], s[4:5], 0x0
	s_add_u32 s0, s4, 32
	v_mov_b32_e32 v3, v1
	s_addc_u32 s1, s5, 0
	s_waitcnt lgkmcnt(0)
	s_and_b32 s20, s2, 0xffff
	v_mov_b32_e32 v1, 0
	v_mov_b32_e32 v4, s6
	v_mad_u64_u32 v[6:7], s[4:5], s20, v4, v[0:1]
	v_mov_b32_e32 v4, 0
	s_and_b32 s3, s3, 0xffff
	v_cmp_gt_u64_e32 vcc, s[12:13], v[6:7]
	v_mov_b32_e32 v5, 0
	s_mov_b32 s7, 0
	s_and_saveexec_b64 s[4:5], vcc
	s_cbranch_execz .LBB0_4
; %bb.1:
	s_load_dword s0, s[0:1], 0x0
	v_lshlrev_b64 v[4:5], 2, v[6:7]
	s_mov_b32 s17, s7
	v_mov_b32_e32 v1, s9
	v_add_co_u32_e32 v8, vcc, s8, v4
	s_waitcnt lgkmcnt(0)
	s_mul_i32 s16, s0, s20
	v_addc_co_u32_e32 v9, vcc, v1, v5, vcc
	s_lshl_b64 s[8:9], s[16:17], 2
	v_mov_b32_e32 v4, 0
	v_mov_b32_e32 v5, 0
	s_mov_b64 s[18:19], 0
	v_mov_b32_e32 v1, s9
.LBB0_2:                                ; =>This Inner Loop Header: Depth=1
	global_load_dword v10, v[8:9], off
	v_add_co_u32_e32 v6, vcc, s16, v6
	v_addc_co_u32_e32 v7, vcc, 0, v7, vcc
	v_cmp_le_u64_e64 s[0:1], s[12:13], v[6:7]
	v_add_co_u32_e32 v8, vcc, s8, v8
	s_or_b64 s[18:19], s[0:1], s[18:19]
	v_addc_co_u32_e32 v9, vcc, v9, v1, vcc
	s_waitcnt vmcnt(0)
	v_cvt_f64_f32_e32 v[10:11], v10
	v_add_f64 v[4:5], v[4:5], v[10:11]
	s_andn2_b64 exec, exec, s[18:19]
	s_cbranch_execnz .LBB0_2
; %bb.3:
	s_or_b64 exec, exec, s[18:19]
.LBB0_4:
	s_or_b64 exec, exec, s[4:5]
	s_lshr_b32 s2, s2, 16
	v_mad_u32_u24 v1, v2, s2, v3
	v_mad_u64_u32 v[0:1], s[0:1], v1, s20, v[0:1]
	v_and_b32_e32 v2, 31, v0
	v_lshlrev_b32_e32 v1, 3, v0
	v_cmp_gt_u32_e32 vcc, 16, v2
	ds_write_b64 v1, v[4:5]
	s_waitcnt lgkmcnt(0)
	s_barrier
	s_and_saveexec_b64 s[0:1], vcc
	s_cbranch_execz .LBB0_6
; %bb.5:
	ds_read_b64 v[6:7], v1 offset:128
	s_waitcnt lgkmcnt(0)
	v_add_f64 v[4:5], v[4:5], v[6:7]
	ds_write_b64 v1, v[4:5]
.LBB0_6:
	s_or_b64 exec, exec, s[0:1]
	v_cmp_gt_u32_e32 vcc, 8, v2
	s_waitcnt lgkmcnt(0)
	buffer_wbinvl1_vol
	s_and_saveexec_b64 s[0:1], vcc
	s_cbranch_execz .LBB0_8
; %bb.7:
	ds_read_b64 v[6:7], v1 offset:64
	s_waitcnt lgkmcnt(0)
	v_add_f64 v[4:5], v[4:5], v[6:7]
	ds_write_b64 v1, v[4:5]
.LBB0_8:
	s_or_b64 exec, exec, s[0:1]
	v_cmp_gt_u32_e32 vcc, 4, v2
	s_waitcnt lgkmcnt(0)
	buffer_wbinvl1_vol
	;; [unrolled: 12-line block ×3, first 2 shown]
	s_and_saveexec_b64 s[0:1], vcc
	s_cbranch_execz .LBB0_12
; %bb.11:
	ds_read_b64 v[6:7], v1 offset:16
	s_waitcnt lgkmcnt(0)
	v_add_f64 v[4:5], v[4:5], v[6:7]
	ds_write_b64 v1, v[4:5]
.LBB0_12:
	s_or_b64 exec, exec, s[0:1]
	v_cmp_eq_u32_e32 vcc, 0, v2
	s_waitcnt lgkmcnt(0)
	buffer_wbinvl1_vol
	s_and_saveexec_b64 s[0:1], vcc
	s_cbranch_execz .LBB0_14
; %bb.13:
	ds_read_b64 v[2:3], v1 offset:8
	s_waitcnt lgkmcnt(0)
	v_add_f64 v[2:3], v[4:5], v[2:3]
	ds_write_b64 v1, v[2:3]
.LBB0_14:
	s_or_b64 exec, exec, s[0:1]
	v_mov_b32_e32 v1, s6
	v_mov_b32_e32 v2, s7
	v_cmp_gt_u64_e32 vcc, s[14:15], v[1:2]
	v_cmp_eq_u32_e64 s[0:1], 0, v0
	s_and_b64 s[0:1], vcc, s[0:1]
	s_waitcnt lgkmcnt(0)
	buffer_wbinvl1_vol
	s_barrier
	s_and_saveexec_b64 s[4:5], s[0:1]
	s_cbranch_execz .LBB0_25
; %bb.15:
	s_mul_i32 s2, s2, s20
	s_and_b32 s0, s3, 0xffff
	s_mul_i32 s2, s2, s0
	s_cmp_eq_u32 s2, 0
	s_mov_b32 s0, 0
	s_cbranch_scc1 .LBB0_20
; %bb.16:
	s_add_i32 s1, s2, -1
	s_lshr_b32 s1, s1, 5
	s_add_i32 s1, s1, 1
	s_cmpk_lt_u32 s2, 0xe1
	s_cbranch_scc1 .LBB0_21
; %bb.17:
	v_mov_b32_e32 v0, 0
	s_and_b32 s2, s1, 0xffffff8
	s_mov_b32 s3, 0
	v_mov_b32_e32 v1, 0
.LBB0_18:                               ; =>This Inner Loop Header: Depth=1
	v_mov_b32_e32 v6, s3
	ds_read2_b64 v[2:5], v6 offset1:32
	s_addk_i32 s0, 0x100
	s_addk_i32 s3, 0x800
	s_add_i32 s2, s2, -8
	s_cmp_eq_u32 s2, 0
	s_waitcnt lgkmcnt(0)
	v_add_f64 v[0:1], v[0:1], v[2:3]
	v_add_f64 v[4:5], v[0:1], v[4:5]
	ds_read2_b64 v[0:3], v6 offset0:64 offset1:96
	s_waitcnt lgkmcnt(0)
	v_add_f64 v[0:1], v[4:5], v[0:1]
	v_add_f64 v[4:5], v[0:1], v[2:3]
	ds_read2_b64 v[0:3], v6 offset0:128 offset1:160
	;; [unrolled: 4-line block ×3, first 2 shown]
	s_waitcnt lgkmcnt(0)
	v_add_f64 v[0:1], v[4:5], v[0:1]
	v_add_f64 v[0:1], v[0:1], v[2:3]
	s_cbranch_scc0 .LBB0_18
; %bb.19:
	s_and_b32 s1, s1, 7
	s_cmp_eq_u32 s1, 0
	s_cbranch_scc0 .LBB0_22
	s_branch .LBB0_24
.LBB0_20:
	v_mov_b32_e32 v0, 0
	v_mov_b32_e32 v1, 0
	s_branch .LBB0_24
.LBB0_21:
	v_mov_b32_e32 v0, 0
	v_mov_b32_e32 v1, 0
	s_and_b32 s1, s1, 7
	s_cmp_eq_u32 s1, 0
	s_cbranch_scc1 .LBB0_24
.LBB0_22:
	s_lshl_b32 s0, s0, 3
.LBB0_23:                               ; =>This Inner Loop Header: Depth=1
	v_mov_b32_e32 v2, s0
	ds_read_b64 v[2:3], v2
	s_addk_i32 s0, 0x100
	s_add_i32 s1, s1, -1
	s_cmp_lg_u32 s1, 0
	s_waitcnt lgkmcnt(0)
	v_add_f64 v[0:1], v[0:1], v[2:3]
	s_cbranch_scc1 .LBB0_23
.LBB0_24:
	s_lshl_b64 s[0:1], s[6:7], 3
	s_add_u32 s0, s10, s0
	s_addc_u32 s1, s11, s1
	v_mov_b32_e32 v2, 0
	global_store_dwordx2 v2, v[0:1], s[0:1]
.LBB0_25:
	s_endpgm
	.section	.rodata,"a",@progbits
	.p2align	6, 0x0
	.amdhsa_kernel _Z6reducePKfPdmm
		.amdhsa_group_segment_fixed_size 2048
		.amdhsa_private_segment_fixed_size 0
		.amdhsa_kernarg_size 288
		.amdhsa_user_sgpr_count 6
		.amdhsa_user_sgpr_private_segment_buffer 1
		.amdhsa_user_sgpr_dispatch_ptr 0
		.amdhsa_user_sgpr_queue_ptr 0
		.amdhsa_user_sgpr_kernarg_segment_ptr 1
		.amdhsa_user_sgpr_dispatch_id 0
		.amdhsa_user_sgpr_flat_scratch_init 0
		.amdhsa_user_sgpr_private_segment_size 0
		.amdhsa_uses_dynamic_stack 0
		.amdhsa_system_sgpr_private_segment_wavefront_offset 0
		.amdhsa_system_sgpr_workgroup_id_x 1
		.amdhsa_system_sgpr_workgroup_id_y 0
		.amdhsa_system_sgpr_workgroup_id_z 0
		.amdhsa_system_sgpr_workgroup_info 0
		.amdhsa_system_vgpr_workitem_id 2
		.amdhsa_next_free_vgpr 29
		.amdhsa_next_free_sgpr 61
		.amdhsa_reserve_vcc 1
		.amdhsa_reserve_flat_scratch 0
		.amdhsa_float_round_mode_32 0
		.amdhsa_float_round_mode_16_64 0
		.amdhsa_float_denorm_mode_32 3
		.amdhsa_float_denorm_mode_16_64 3
		.amdhsa_dx10_clamp 1
		.amdhsa_ieee_mode 1
		.amdhsa_fp16_overflow 0
		.amdhsa_exception_fp_ieee_invalid_op 0
		.amdhsa_exception_fp_denorm_src 0
		.amdhsa_exception_fp_ieee_div_zero 0
		.amdhsa_exception_fp_ieee_overflow 0
		.amdhsa_exception_fp_ieee_underflow 0
		.amdhsa_exception_fp_ieee_inexact 0
		.amdhsa_exception_int_div_zero 0
	.end_amdhsa_kernel
	.text
.Lfunc_end0:
	.size	_Z6reducePKfPdmm, .Lfunc_end0-_Z6reducePKfPdmm
                                        ; -- End function
	.set _Z6reducePKfPdmm.num_vgpr, 12
	.set _Z6reducePKfPdmm.num_agpr, 0
	.set _Z6reducePKfPdmm.numbered_sgpr, 21
	.set _Z6reducePKfPdmm.num_named_barrier, 0
	.set _Z6reducePKfPdmm.private_seg_size, 0
	.set _Z6reducePKfPdmm.uses_vcc, 1
	.set _Z6reducePKfPdmm.uses_flat_scratch, 0
	.set _Z6reducePKfPdmm.has_dyn_sized_stack, 0
	.set _Z6reducePKfPdmm.has_recursion, 0
	.set _Z6reducePKfPdmm.has_indirect_call, 0
	.section	.AMDGPU.csdata,"",@progbits
; Kernel info:
; codeLenInByte = 900
; TotalNumSgprs: 25
; NumVgprs: 12
; ScratchSize: 0
; MemoryBound: 0
; FloatMode: 240
; IeeeMode: 1
; LDSByteSize: 2048 bytes/workgroup (compile time only)
; SGPRBlocks: 8
; VGPRBlocks: 7
; NumSGPRsForWavesPerEU: 65
; NumVGPRsForWavesPerEU: 29
; Occupancy: 8
; WaveLimiterHint : 0
; COMPUTE_PGM_RSRC2:SCRATCH_EN: 0
; COMPUTE_PGM_RSRC2:USER_SGPR: 6
; COMPUTE_PGM_RSRC2:TRAP_HANDLER: 0
; COMPUTE_PGM_RSRC2:TGID_X_EN: 1
; COMPUTE_PGM_RSRC2:TGID_Y_EN: 0
; COMPUTE_PGM_RSRC2:TGID_Z_EN: 0
; COMPUTE_PGM_RSRC2:TIDIG_COMP_CNT: 2
	.text
	.protected	_Z11reduceFinalPKdPdm   ; -- Begin function _Z11reduceFinalPKdPdm
	.globl	_Z11reduceFinalPKdPdm
	.p2align	8
	.type	_Z11reduceFinalPKdPdm,@function
_Z11reduceFinalPKdPdm:                  ; @_Z11reduceFinalPKdPdm
; %bb.0:
	s_load_dword s15, s[4:5], 0x24
	s_load_dwordx2 s[8:9], s[4:5], 0x10
	s_add_u32 s10, s4, 24
	v_mov_b32_e32 v3, v1
	s_addc_u32 s11, s5, 0
	s_waitcnt lgkmcnt(0)
	s_and_b32 s14, s15, 0xffff
	v_mov_b32_e32 v1, 0
	v_mov_b32_e32 v4, s6
	v_mad_u64_u32 v[6:7], s[0:1], s14, v4, v[0:1]
	s_load_dwordx4 s[0:3], s[4:5], 0x0
	v_mov_b32_e32 v4, 0
	v_cmp_gt_u64_e32 vcc, s[8:9], v[6:7]
	v_mov_b32_e32 v5, 0
	s_and_saveexec_b64 s[4:5], vcc
	s_cbranch_execz .LBB1_4
; %bb.1:
	s_load_dword s6, s[10:11], 0x0
	v_lshlrev_b64 v[4:5], 3, v[6:7]
	s_mov_b32 s7, 0
	s_waitcnt lgkmcnt(0)
	v_mov_b32_e32 v1, s1
	v_add_co_u32_e32 v8, vcc, s0, v4
	s_mul_i32 s6, s6, s14
	v_addc_co_u32_e32 v9, vcc, v1, v5, vcc
	s_lshl_b64 s[10:11], s[6:7], 3
	v_mov_b32_e32 v4, 0
	v_mov_b32_e32 v5, 0
	s_mov_b64 s[12:13], 0
	v_mov_b32_e32 v1, s11
.LBB1_2:                                ; =>This Inner Loop Header: Depth=1
	global_load_dwordx2 v[10:11], v[8:9], off
	v_add_co_u32_e32 v6, vcc, s6, v6
	v_addc_co_u32_e32 v7, vcc, 0, v7, vcc
	v_cmp_le_u64_e64 s[0:1], s[8:9], v[6:7]
	v_add_co_u32_e32 v8, vcc, s10, v8
	s_or_b64 s[12:13], s[0:1], s[12:13]
	v_addc_co_u32_e32 v9, vcc, v9, v1, vcc
	s_waitcnt vmcnt(0)
	v_add_f64 v[4:5], v[4:5], v[10:11]
	s_andn2_b64 exec, exec, s[12:13]
	s_cbranch_execnz .LBB1_2
; %bb.3:
	s_or_b64 exec, exec, s[12:13]
.LBB1_4:
	s_or_b64 exec, exec, s[4:5]
	s_waitcnt lgkmcnt(0)
	s_lshr_b32 s0, s15, 16
	v_mad_u32_u24 v1, v2, s0, v3
	v_mad_u64_u32 v[0:1], s[0:1], v1, s14, v[0:1]
	s_cmpk_gt_u32 s14, 0x1ff
	s_movk_i32 s4, 0x100
	s_cselect_b64 s[0:1], -1, 0
	v_cmp_gt_u32_e32 vcc, s4, v0
	v_lshlrev_b32_e32 v1, 3, v0
	s_and_b64 s[4:5], s[0:1], vcc
	ds_write_b64 v1, v[4:5]
	s_waitcnt lgkmcnt(0)
	s_barrier
	s_and_saveexec_b64 s[0:1], s[4:5]
	s_cbranch_execz .LBB1_6
; %bb.5:
	ds_read_b64 v[2:3], v1 offset:2048
	s_waitcnt lgkmcnt(0)
	v_add_f64 v[4:5], v[4:5], v[2:3]
	ds_write_b64 v1, v[4:5]
.LBB1_6:
	s_or_b64 exec, exec, s[0:1]
	s_cmpk_gt_u32 s14, 0xff
	s_movk_i32 s4, 0x80
	s_cselect_b64 s[0:1], -1, 0
	v_cmp_gt_u32_e32 vcc, s4, v0
	s_and_b64 s[4:5], s[0:1], vcc
	s_waitcnt lgkmcnt(0)
	s_barrier
	s_and_saveexec_b64 s[0:1], s[4:5]
	s_cbranch_execz .LBB1_8
; %bb.7:
	ds_read_b64 v[2:3], v1 offset:1024
	s_waitcnt lgkmcnt(0)
	v_add_f64 v[4:5], v[4:5], v[2:3]
	ds_write_b64 v1, v[4:5]
.LBB1_8:
	s_or_b64 exec, exec, s[0:1]
	s_cmpk_gt_u32 s14, 0x7f
	s_cselect_b64 s[0:1], -1, 0
	v_cmp_gt_u32_e32 vcc, 64, v0
	s_and_b64 s[4:5], s[0:1], vcc
	s_waitcnt lgkmcnt(0)
	s_barrier
	s_and_saveexec_b64 s[0:1], s[4:5]
	s_cbranch_execz .LBB1_10
; %bb.9:
	ds_read_b64 v[2:3], v1 offset:512
	s_waitcnt lgkmcnt(0)
	v_add_f64 v[4:5], v[4:5], v[2:3]
	ds_write_b64 v1, v[4:5]
.LBB1_10:
	s_or_b64 exec, exec, s[0:1]
	v_cmp_gt_u32_e32 vcc, 32, v0
	s_waitcnt lgkmcnt(0)
	s_barrier
	s_and_saveexec_b64 s[0:1], vcc
	s_cbranch_execnz .LBB1_13
; %bb.11:
	s_or_b64 exec, exec, s[0:1]
	v_cmp_eq_u32_e32 vcc, 0, v0
	s_and_saveexec_b64 s[0:1], vcc
	s_cbranch_execnz .LBB1_16
.LBB1_12:
	s_endpgm
.LBB1_13:
	s_cmp_lt_u32 s14, 64
	s_cbranch_scc1 .LBB1_15
; %bb.14:
	ds_read_b64 v[1:2], v1 offset:256
	s_waitcnt lgkmcnt(0)
	v_add_f64 v[4:5], v[4:5], v[1:2]
.LBB1_15:
	v_mbcnt_lo_u32_b32 v1, -1, 0
	v_mbcnt_hi_u32_b32 v6, -1, v1
	v_and_b32_e32 v7, 31, v6
	v_xor_b32_e32 v8, 31, v7
	v_and_b32_e32 v1, 16, v8
	v_add_lshl_u32 v2, v1, v6, 2
	ds_bpermute_b32 v1, v2, v4
	ds_bpermute_b32 v2, v2, v5
	v_cmp_gt_u32_e32 vcc, 8, v8
	v_cndmask_b32_e64 v3, 8, 0, vcc
	v_cmp_gt_u32_e32 vcc, 4, v8
	s_waitcnt lgkmcnt(0)
	v_add_f64 v[1:2], v[4:5], v[1:2]
	v_add_lshl_u32 v4, v3, v6, 2
	ds_bpermute_b32 v3, v4, v1
	ds_bpermute_b32 v4, v4, v2
	s_waitcnt lgkmcnt(0)
	v_add_f64 v[1:2], v[1:2], v[3:4]
	v_cndmask_b32_e64 v3, 4, 0, vcc
	v_add_lshl_u32 v4, v3, v6, 2
	v_cmp_gt_u32_e32 vcc, 2, v8
	ds_bpermute_b32 v3, v4, v1
	ds_bpermute_b32 v4, v4, v2
	s_waitcnt lgkmcnt(0)
	v_add_f64 v[1:2], v[1:2], v[3:4]
	v_cndmask_b32_e64 v3, 2, 0, vcc
	v_add_lshl_u32 v4, v3, v6, 2
	v_cmp_ne_u32_e32 vcc, 31, v7
	ds_bpermute_b32 v3, v4, v1
	ds_bpermute_b32 v4, v4, v2
	s_waitcnt lgkmcnt(0)
	v_add_f64 v[1:2], v[1:2], v[3:4]
	v_addc_co_u32_e32 v3, vcc, 0, v6, vcc
	v_lshlrev_b32_e32 v4, 2, v3
	ds_bpermute_b32 v3, v4, v1
	ds_bpermute_b32 v4, v4, v2
	s_waitcnt lgkmcnt(0)
	v_add_f64 v[4:5], v[1:2], v[3:4]
	s_or_b64 exec, exec, s[0:1]
	v_cmp_eq_u32_e32 vcc, 0, v0
	s_and_saveexec_b64 s[0:1], vcc
	s_cbranch_execz .LBB1_12
.LBB1_16:
	v_mov_b32_e32 v0, 0
	global_store_dwordx2 v0, v[4:5], s[2:3]
	s_endpgm
	.section	.rodata,"a",@progbits
	.p2align	6, 0x0
	.amdhsa_kernel _Z11reduceFinalPKdPdm
		.amdhsa_group_segment_fixed_size 2048
		.amdhsa_private_segment_fixed_size 0
		.amdhsa_kernarg_size 280
		.amdhsa_user_sgpr_count 6
		.amdhsa_user_sgpr_private_segment_buffer 1
		.amdhsa_user_sgpr_dispatch_ptr 0
		.amdhsa_user_sgpr_queue_ptr 0
		.amdhsa_user_sgpr_kernarg_segment_ptr 1
		.amdhsa_user_sgpr_dispatch_id 0
		.amdhsa_user_sgpr_flat_scratch_init 0
		.amdhsa_user_sgpr_private_segment_size 0
		.amdhsa_uses_dynamic_stack 0
		.amdhsa_system_sgpr_private_segment_wavefront_offset 0
		.amdhsa_system_sgpr_workgroup_id_x 1
		.amdhsa_system_sgpr_workgroup_id_y 0
		.amdhsa_system_sgpr_workgroup_id_z 0
		.amdhsa_system_sgpr_workgroup_info 0
		.amdhsa_system_vgpr_workitem_id 2
		.amdhsa_next_free_vgpr 29
		.amdhsa_next_free_sgpr 61
		.amdhsa_reserve_vcc 1
		.amdhsa_reserve_flat_scratch 0
		.amdhsa_float_round_mode_32 0
		.amdhsa_float_round_mode_16_64 0
		.amdhsa_float_denorm_mode_32 3
		.amdhsa_float_denorm_mode_16_64 3
		.amdhsa_dx10_clamp 1
		.amdhsa_ieee_mode 1
		.amdhsa_fp16_overflow 0
		.amdhsa_exception_fp_ieee_invalid_op 0
		.amdhsa_exception_fp_denorm_src 0
		.amdhsa_exception_fp_ieee_div_zero 0
		.amdhsa_exception_fp_ieee_overflow 0
		.amdhsa_exception_fp_ieee_underflow 0
		.amdhsa_exception_fp_ieee_inexact 0
		.amdhsa_exception_int_div_zero 0
	.end_amdhsa_kernel
	.text
.Lfunc_end1:
	.size	_Z11reduceFinalPKdPdm, .Lfunc_end1-_Z11reduceFinalPKdPdm
                                        ; -- End function
	.set _Z11reduceFinalPKdPdm.num_vgpr, 12
	.set _Z11reduceFinalPKdPdm.num_agpr, 0
	.set _Z11reduceFinalPKdPdm.numbered_sgpr, 16
	.set _Z11reduceFinalPKdPdm.num_named_barrier, 0
	.set _Z11reduceFinalPKdPdm.private_seg_size, 0
	.set _Z11reduceFinalPKdPdm.uses_vcc, 1
	.set _Z11reduceFinalPKdPdm.uses_flat_scratch, 0
	.set _Z11reduceFinalPKdPdm.has_dyn_sized_stack, 0
	.set _Z11reduceFinalPKdPdm.has_recursion, 0
	.set _Z11reduceFinalPKdPdm.has_indirect_call, 0
	.section	.AMDGPU.csdata,"",@progbits
; Kernel info:
; codeLenInByte = 792
; TotalNumSgprs: 20
; NumVgprs: 12
; ScratchSize: 0
; MemoryBound: 0
; FloatMode: 240
; IeeeMode: 1
; LDSByteSize: 2048 bytes/workgroup (compile time only)
; SGPRBlocks: 8
; VGPRBlocks: 7
; NumSGPRsForWavesPerEU: 65
; NumVGPRsForWavesPerEU: 29
; Occupancy: 8
; WaveLimiterHint : 0
; COMPUTE_PGM_RSRC2:SCRATCH_EN: 0
; COMPUTE_PGM_RSRC2:USER_SGPR: 6
; COMPUTE_PGM_RSRC2:TRAP_HANDLER: 0
; COMPUTE_PGM_RSRC2:TGID_X_EN: 1
; COMPUTE_PGM_RSRC2:TGID_Y_EN: 0
; COMPUTE_PGM_RSRC2:TGID_Z_EN: 0
; COMPUTE_PGM_RSRC2:TIDIG_COMP_CNT: 2
	.section	.AMDGPU.gpr_maximums,"",@progbits
	.set amdgpu.max_num_vgpr, 0
	.set amdgpu.max_num_agpr, 0
	.set amdgpu.max_num_sgpr, 0
	.section	.AMDGPU.csdata,"",@progbits
	.type	__hip_cuid_9089f96a4d1a92c6,@object ; @__hip_cuid_9089f96a4d1a92c6
	.section	.bss,"aw",@nobits
	.globl	__hip_cuid_9089f96a4d1a92c6
__hip_cuid_9089f96a4d1a92c6:
	.byte	0                               ; 0x0
	.size	__hip_cuid_9089f96a4d1a92c6, 1

	.ident	"AMD clang version 22.0.0git (https://github.com/RadeonOpenCompute/llvm-project roc-7.2.4 26084 f58b06dce1f9c15707c5f808fd002e18c2accf7e)"
	.section	".note.GNU-stack","",@progbits
	.addrsig
	.addrsig_sym __hip_cuid_9089f96a4d1a92c6
	.amdgpu_metadata
---
amdhsa.kernels:
  - .args:
      - .address_space:  global
        .offset:         0
        .size:           8
        .value_kind:     global_buffer
      - .address_space:  global
        .offset:         8
        .size:           8
        .value_kind:     global_buffer
      - .offset:         16
        .size:           8
        .value_kind:     by_value
      - .offset:         24
        .size:           8
        .value_kind:     by_value
      - .offset:         32
        .size:           4
        .value_kind:     hidden_block_count_x
      - .offset:         36
        .size:           4
        .value_kind:     hidden_block_count_y
      - .offset:         40
        .size:           4
        .value_kind:     hidden_block_count_z
      - .offset:         44
        .size:           2
        .value_kind:     hidden_group_size_x
      - .offset:         46
        .size:           2
        .value_kind:     hidden_group_size_y
      - .offset:         48
        .size:           2
        .value_kind:     hidden_group_size_z
      - .offset:         50
        .size:           2
        .value_kind:     hidden_remainder_x
      - .offset:         52
        .size:           2
        .value_kind:     hidden_remainder_y
      - .offset:         54
        .size:           2
        .value_kind:     hidden_remainder_z
      - .offset:         72
        .size:           8
        .value_kind:     hidden_global_offset_x
      - .offset:         80
        .size:           8
        .value_kind:     hidden_global_offset_y
      - .offset:         88
        .size:           8
        .value_kind:     hidden_global_offset_z
      - .offset:         96
        .size:           2
        .value_kind:     hidden_grid_dims
    .group_segment_fixed_size: 2048
    .kernarg_segment_align: 8
    .kernarg_segment_size: 288
    .language:       OpenCL C
    .language_version:
      - 2
      - 0
    .max_flat_workgroup_size: 1024
    .name:           _Z6reducePKfPdmm
    .private_segment_fixed_size: 0
    .sgpr_count:     25
    .sgpr_spill_count: 0
    .symbol:         _Z6reducePKfPdmm.kd
    .uniform_work_group_size: 1
    .uses_dynamic_stack: false
    .vgpr_count:     12
    .vgpr_spill_count: 0
    .wavefront_size: 64
  - .args:
      - .address_space:  global
        .offset:         0
        .size:           8
        .value_kind:     global_buffer
      - .address_space:  global
        .offset:         8
        .size:           8
        .value_kind:     global_buffer
      - .offset:         16
        .size:           8
        .value_kind:     by_value
      - .offset:         24
        .size:           4
        .value_kind:     hidden_block_count_x
      - .offset:         28
        .size:           4
        .value_kind:     hidden_block_count_y
      - .offset:         32
        .size:           4
        .value_kind:     hidden_block_count_z
      - .offset:         36
        .size:           2
        .value_kind:     hidden_group_size_x
      - .offset:         38
        .size:           2
        .value_kind:     hidden_group_size_y
      - .offset:         40
        .size:           2
        .value_kind:     hidden_group_size_z
      - .offset:         42
        .size:           2
        .value_kind:     hidden_remainder_x
      - .offset:         44
        .size:           2
        .value_kind:     hidden_remainder_y
      - .offset:         46
        .size:           2
        .value_kind:     hidden_remainder_z
      - .offset:         64
        .size:           8
        .value_kind:     hidden_global_offset_x
      - .offset:         72
        .size:           8
        .value_kind:     hidden_global_offset_y
      - .offset:         80
        .size:           8
        .value_kind:     hidden_global_offset_z
      - .offset:         88
        .size:           2
        .value_kind:     hidden_grid_dims
    .group_segment_fixed_size: 2048
    .kernarg_segment_align: 8
    .kernarg_segment_size: 280
    .language:       OpenCL C
    .language_version:
      - 2
      - 0
    .max_flat_workgroup_size: 1024
    .name:           _Z11reduceFinalPKdPdm
    .private_segment_fixed_size: 0
    .sgpr_count:     20
    .sgpr_spill_count: 0
    .symbol:         _Z11reduceFinalPKdPdm.kd
    .uniform_work_group_size: 1
    .uses_dynamic_stack: false
    .vgpr_count:     12
    .vgpr_spill_count: 0
    .wavefront_size: 64
amdhsa.target:   amdgcn-amd-amdhsa--gfx906
amdhsa.version:
  - 1
  - 2
...

	.end_amdgpu_metadata
